;; amdgpu-corpus repo=ROCm/rocFFT kind=compiled arch=gfx906 opt=O3
	.text
	.amdgcn_target "amdgcn-amd-amdhsa--gfx906"
	.amdhsa_code_object_version 6
	.protected	fft_rtc_back_len208_factors_13_8_2_wgs_234_tpt_26_dim3_dp_ip_CI_sbcc_twdbase8_3step_dirReg ; -- Begin function fft_rtc_back_len208_factors_13_8_2_wgs_234_tpt_26_dim3_dp_ip_CI_sbcc_twdbase8_3step_dirReg
	.globl	fft_rtc_back_len208_factors_13_8_2_wgs_234_tpt_26_dim3_dp_ip_CI_sbcc_twdbase8_3step_dirReg
	.p2align	8
	.type	fft_rtc_back_len208_factors_13_8_2_wgs_234_tpt_26_dim3_dp_ip_CI_sbcc_twdbase8_3step_dirReg,@function
fft_rtc_back_len208_factors_13_8_2_wgs_234_tpt_26_dim3_dp_ip_CI_sbcc_twdbase8_3step_dirReg: ; @fft_rtc_back_len208_factors_13_8_2_wgs_234_tpt_26_dim3_dp_ip_CI_sbcc_twdbase8_3step_dirReg
; %bb.0:
	s_load_dwordx4 s[0:3], s[4:5], 0x10
	s_mov_b32 s7, 0
	s_waitcnt lgkmcnt(0)
	s_load_dwordx2 s[18:19], s[0:1], 0x8
	s_waitcnt lgkmcnt(0)
	s_add_u32 s8, s18, -1
	s_addc_u32 s9, s19, -1
	s_add_u32 s10, 0, 0x71c4fc00
	s_addc_u32 s11, 0, 0x7c
	s_mul_hi_u32 s13, s10, -9
	s_add_i32 s11, s11, 0x1c71c6a0
	s_sub_i32 s13, s13, s10
	s_mul_i32 s16, s11, -9
	s_mul_i32 s12, s10, -9
	s_add_i32 s13, s13, s16
	s_mul_hi_u32 s14, s11, s12
	s_mul_i32 s15, s11, s12
	s_mul_i32 s17, s10, s13
	s_mul_hi_u32 s12, s10, s12
	s_mul_hi_u32 s16, s10, s13
	s_add_u32 s12, s12, s17
	s_addc_u32 s16, 0, s16
	s_add_u32 s12, s12, s15
	s_mul_hi_u32 s17, s11, s13
	s_addc_u32 s12, s16, s14
	s_addc_u32 s14, s17, 0
	s_mul_i32 s13, s11, s13
	s_add_u32 s12, s12, s13
	v_mov_b32_e32 v1, s12
	s_addc_u32 s13, 0, s14
	v_add_co_u32_e32 v1, vcc, s10, v1
	s_cmp_lg_u64 vcc, 0
	s_addc_u32 s10, s11, s13
	v_readfirstlane_b32 s13, v1
	s_mul_i32 s12, s8, s10
	s_mul_hi_u32 s14, s8, s13
	s_mul_hi_u32 s11, s8, s10
	s_add_u32 s12, s14, s12
	s_addc_u32 s11, 0, s11
	s_mul_hi_u32 s15, s9, s13
	s_mul_i32 s13, s9, s13
	s_add_u32 s12, s12, s13
	s_mul_hi_u32 s14, s9, s10
	s_addc_u32 s11, s11, s15
	s_addc_u32 s12, s14, 0
	s_mul_i32 s10, s9, s10
	s_add_u32 s10, s11, s10
	s_addc_u32 s11, 0, s12
	s_add_u32 s12, s10, 1
	s_addc_u32 s13, s11, 0
	s_add_u32 s14, s10, 2
	s_mul_i32 s16, s11, 9
	s_mul_hi_u32 s17, s10, 9
	s_addc_u32 s15, s11, 0
	s_add_i32 s17, s17, s16
	s_mul_i32 s16, s10, 9
	v_mov_b32_e32 v1, s16
	v_sub_co_u32_e32 v1, vcc, s8, v1
	s_cmp_lg_u64 vcc, 0
	s_subb_u32 s8, s9, s17
	v_subrev_co_u32_e32 v2, vcc, 9, v1
	s_cmp_lg_u64 vcc, 0
	s_subb_u32 s9, s8, 0
	v_readfirstlane_b32 s16, v2
	s_cmp_gt_u32 s16, 8
	s_cselect_b32 s16, -1, 0
	s_cmp_eq_u32 s9, 0
	s_cselect_b32 s9, s16, -1
	s_cmp_lg_u32 s9, 0
	s_cselect_b32 s9, s14, s12
	s_cselect_b32 s12, s15, s13
	v_readfirstlane_b32 s13, v1
	s_cmp_gt_u32 s13, 8
	s_cselect_b32 s13, -1, 0
	s_cmp_eq_u32 s8, 0
	s_cselect_b32 s8, s13, -1
	s_cmp_lg_u32 s8, 0
	s_cselect_b32 s9, s9, s10
	s_cselect_b32 s8, s12, s11
	s_add_u32 s14, s9, 1
	s_addc_u32 s15, s8, 0
	v_mov_b32_e32 v1, s14
	v_mov_b32_e32 v2, s15
	v_cmp_lt_u64_e32 vcc, s[6:7], v[1:2]
	s_mov_b64 s[16:17], 0
	s_cbranch_vccnz .LBB0_2
; %bb.1:
	v_cvt_f32_u32_e32 v1, s14
	s_sub_i32 s8, 0, s14
	s_mov_b32 s17, s7
	v_rcp_iflag_f32_e32 v1, v1
	v_mul_f32_e32 v1, 0x4f7ffffe, v1
	v_cvt_u32_f32_e32 v1, v1
	v_readfirstlane_b32 s9, v1
	s_mul_i32 s8, s8, s9
	s_mul_hi_u32 s8, s9, s8
	s_add_i32 s9, s9, s8
	s_mul_hi_u32 s8, s6, s9
	s_mul_i32 s10, s8, s14
	s_sub_i32 s10, s6, s10
	s_add_i32 s9, s8, 1
	s_sub_i32 s11, s10, s14
	s_cmp_ge_u32 s10, s14
	s_cselect_b32 s8, s9, s8
	s_cselect_b32 s10, s11, s10
	s_add_i32 s9, s8, 1
	s_cmp_ge_u32 s10, s14
	s_cselect_b32 s16, s9, s8
.LBB0_2:
	s_load_dwordx2 s[8:9], s[0:1], 0x10
	s_load_dwordx2 s[10:11], s[2:3], 0x8
	s_mov_b64 s[0:1], s[16:17]
	s_waitcnt lgkmcnt(0)
	v_mov_b32_e32 v1, s8
	v_mov_b32_e32 v2, s9
	v_cmp_lt_u64_e32 vcc, s[16:17], v[1:2]
	s_cbranch_vccnz .LBB0_4
; %bb.3:
	v_cvt_f32_u32_e32 v1, s8
	s_sub_i32 s0, 0, s8
	v_rcp_iflag_f32_e32 v1, v1
	v_mul_f32_e32 v1, 0x4f7ffffe, v1
	v_cvt_u32_f32_e32 v1, v1
	v_readfirstlane_b32 s1, v1
	s_mul_i32 s0, s0, s1
	s_mul_hi_u32 s0, s1, s0
	s_add_i32 s1, s1, s0
	s_mul_hi_u32 s0, s16, s1
	s_mul_i32 s0, s0, s8
	s_sub_i32 s0, s16, s0
	s_sub_i32 s1, s0, s8
	s_cmp_ge_u32 s0, s8
	s_cselect_b32 s0, s1, s0
	s_sub_i32 s1, s0, s8
	s_cmp_ge_u32 s0, s8
	s_cselect_b32 s0, s1, s0
.LBB0_4:
	s_mul_i32 s1, s8, s15
	s_mul_hi_u32 s17, s8, s14
	s_add_i32 s1, s17, s1
	s_mul_i32 s9, s9, s14
	s_mul_i32 s24, s8, s14
	s_load_dwordx2 s[12:13], s[4:5], 0x50
	s_add_i32 s25, s1, s9
	s_load_dwordx2 s[8:9], s[2:3], 0x0
	s_load_dwordx2 s[20:21], s[2:3], 0x10
	v_mov_b32_e32 v1, s24
	v_mov_b32_e32 v2, s25
	v_cmp_lt_u64_e32 vcc, s[6:7], v[1:2]
	s_mov_b64 s[22:23], 0
	s_cbranch_vccnz .LBB0_6
; %bb.5:
	v_cvt_f32_u32_e32 v1, s24
	s_sub_i32 s1, 0, s24
	v_rcp_iflag_f32_e32 v1, v1
	v_mul_f32_e32 v1, 0x4f7ffffe, v1
	v_cvt_u32_f32_e32 v1, v1
	v_readfirstlane_b32 s7, v1
	s_mul_i32 s1, s1, s7
	s_mul_hi_u32 s1, s7, s1
	s_add_i32 s7, s7, s1
	s_mul_hi_u32 s1, s6, s7
	s_mul_i32 s17, s1, s24
	s_sub_i32 s17, s6, s17
	s_add_i32 s7, s1, 1
	s_sub_i32 s22, s17, s24
	s_cmp_ge_u32 s17, s24
	s_cselect_b32 s1, s7, s1
	s_cselect_b32 s17, s22, s17
	s_add_i32 s7, s1, 1
	s_cmp_ge_u32 s17, s24
	s_cselect_b32 s22, s7, s1
.LBB0_6:
	s_mul_i32 s1, s16, s15
	s_mul_hi_u32 s7, s16, s14
	s_add_i32 s7, s7, s1
	s_mul_i32 s1, s16, s14
	s_sub_u32 s1, s6, s1
	s_subb_u32 s6, 0, s7
	s_mul_i32 s6, s6, 9
	s_mul_hi_u32 s7, s1, 9
	s_load_dwordx2 s[2:3], s[2:3], 0x18
	s_add_i32 s24, s7, s6
	s_mul_i32 s23, s1, 9
	s_mul_i32 s1, s10, s24
	s_mul_hi_u32 s6, s10, s23
	s_add_i32 s1, s6, s1
	s_mul_i32 s6, s11, s23
	s_waitcnt lgkmcnt(0)
	s_mul_i32 s7, s21, s0
	s_mul_hi_u32 s14, s20, s0
	s_add_i32 s1, s1, s6
	s_mul_i32 s6, s10, s23
	s_add_i32 s14, s14, s7
	s_mul_i32 s0, s20, s0
	s_add_u32 s0, s0, s6
	s_mul_i32 s3, s3, s22
	s_mul_hi_u32 s6, s2, s22
	s_addc_u32 s1, s14, s1
	s_add_i32 s6, s6, s3
	s_mul_i32 s2, s2, s22
	v_mul_u32_u24_e32 v1, 0x1c72, v0
	s_add_u32 s14, s2, s0
	v_lshrrev_b32_e32 v95, 16, v1
	s_addc_u32 s15, s6, s1
	v_mul_lo_u16_e32 v1, 9, v95
	v_sub_u16_e32 v94, v0, v1
	s_add_u32 s0, s23, 9
	v_mov_b32_e32 v1, s18
	s_addc_u32 s1, s24, 0
	v_mov_b32_e32 v2, s19
	v_cmp_le_u64_e32 vcc, s[0:1], v[1:2]
	s_movk_i32 s0, 0x90
	v_cmp_gt_u32_e64 s[2:3], s0, v0
	s_and_b64 s[0:1], s[2:3], vcc
	v_add_u32_e32 v58, 16, v95
	v_or_b32_e32 v57, 32, v95
	v_add_u32_e32 v56, 48, v95
	v_or_b32_e32 v55, 64, v95
                                        ; implicit-def: $vgpr7_vgpr8
                                        ; implicit-def: $vgpr19_vgpr20
                                        ; implicit-def: $vgpr27_vgpr28
                                        ; implicit-def: $vgpr11_vgpr12
                                        ; implicit-def: $vgpr35_vgpr36
                                        ; implicit-def: $vgpr39_vgpr40
                                        ; implicit-def: $vgpr51_vgpr52
                                        ; implicit-def: $vgpr43_vgpr44
                                        ; implicit-def: $vgpr47_vgpr48
                                        ; implicit-def: $vgpr15_vgpr16
                                        ; implicit-def: $vgpr31_vgpr32
                                        ; implicit-def: $vgpr23_vgpr24
                                        ; implicit-def: $vgpr3_vgpr4
	s_and_saveexec_b64 s[6:7], s[0:1]
	s_cbranch_execz .LBB0_8
; %bb.7:
	v_mad_u64_u32 v[1:2], s[0:1], s10, v94, 0
	v_mad_u64_u32 v[3:4], s[0:1], s8, v95, 0
	;; [unrolled: 1-line block ×3, first 2 shown]
	v_mov_b32_e32 v2, v4
	v_mad_u64_u32 v[6:7], s[0:1], s9, v95, v[2:3]
	s_lshl_b64 s[0:1], s[14:15], 4
	s_add_u32 s16, s12, s0
	s_addc_u32 s0, s13, s1
	v_mov_b32_e32 v2, v5
	v_mov_b32_e32 v4, v6
	;; [unrolled: 1-line block ×3, first 2 shown]
	v_mad_u64_u32 v[5:6], s[0:1], s8, v58, 0
	v_lshlrev_b64 v[1:2], 4, v[1:2]
	v_add_co_u32_e64 v9, s[0:1], s16, v1
	v_addc_co_u32_e64 v10, s[0:1], v7, v2, s[0:1]
	v_lshlrev_b64 v[1:2], 4, v[3:4]
	v_mov_b32_e32 v3, v6
	v_mad_u64_u32 v[3:4], s[0:1], s9, v58, v[3:4]
	v_mad_u64_u32 v[7:8], s[0:1], s8, v57, 0
	v_add_co_u32_e64 v53, s[0:1], v9, v1
	v_mov_b32_e32 v6, v3
	v_mov_b32_e32 v3, v8
	v_addc_co_u32_e64 v54, s[0:1], v10, v2, s[0:1]
	v_mad_u64_u32 v[3:4], s[0:1], s9, v57, v[3:4]
	v_lshlrev_b64 v[1:2], 4, v[5:6]
	v_mad_u64_u32 v[4:5], s[0:1], s8, v56, 0
	v_add_co_u32_e64 v59, s[0:1], v9, v1
	v_mov_b32_e32 v8, v3
	v_mov_b32_e32 v3, v5
	v_addc_co_u32_e64 v60, s[0:1], v10, v2, s[0:1]
	v_mad_u64_u32 v[5:6], s[0:1], s9, v56, v[3:4]
	v_lshlrev_b64 v[1:2], 4, v[7:8]
	v_mad_u64_u32 v[6:7], s[0:1], s8, v55, 0
	v_add_co_u32_e64 v61, s[0:1], v9, v1
	v_mov_b32_e32 v3, v7
	v_addc_co_u32_e64 v62, s[0:1], v10, v2, s[0:1]
	v_lshlrev_b64 v[1:2], 4, v[4:5]
	v_mad_u64_u32 v[3:4], s[0:1], s9, v55, v[3:4]
	v_add_u32_e32 v8, 0x50, v95
	v_mad_u64_u32 v[4:5], s[0:1], s8, v8, 0
	v_add_co_u32_e64 v63, s[0:1], v9, v1
	v_mov_b32_e32 v7, v3
	v_mov_b32_e32 v3, v5
	v_addc_co_u32_e64 v64, s[0:1], v10, v2, s[0:1]
	v_lshlrev_b64 v[1:2], 4, v[6:7]
	v_mad_u64_u32 v[5:6], s[0:1], s9, v8, v[3:4]
	v_or_b32_e32 v8, 0x60, v95
	v_mad_u64_u32 v[6:7], s[0:1], s8, v8, 0
	v_add_co_u32_e64 v65, s[0:1], v9, v1
	v_mov_b32_e32 v3, v7
	v_addc_co_u32_e64 v66, s[0:1], v10, v2, s[0:1]
	v_lshlrev_b64 v[1:2], 4, v[4:5]
	v_mad_u64_u32 v[3:4], s[0:1], s9, v8, v[3:4]
	v_add_u32_e32 v8, 0x70, v95
	v_mad_u64_u32 v[4:5], s[0:1], s8, v8, 0
	v_add_co_u32_e64 v67, s[0:1], v9, v1
	v_mov_b32_e32 v7, v3
	v_mov_b32_e32 v3, v5
	v_addc_co_u32_e64 v68, s[0:1], v10, v2, s[0:1]
	v_lshlrev_b64 v[1:2], 4, v[6:7]
	v_mad_u64_u32 v[5:6], s[0:1], s9, v8, v[3:4]
	v_or_b32_e32 v8, 0x80, v95
	;; [unrolled: 15-line block ×4, first 2 shown]
	v_mad_u64_u32 v[6:7], s[0:1], s8, v8, 0
	v_add_co_u32_e64 v77, s[0:1], v9, v1
	v_mov_b32_e32 v3, v7
	v_addc_co_u32_e64 v78, s[0:1], v10, v2, s[0:1]
	v_lshlrev_b64 v[1:2], 4, v[4:5]
	v_mad_u64_u32 v[3:4], s[0:1], s9, v8, v[3:4]
	v_add_co_u32_e64 v79, s[0:1], v9, v1
	v_mov_b32_e32 v7, v3
	v_addc_co_u32_e64 v80, s[0:1], v10, v2, s[0:1]
	v_lshlrev_b64 v[1:2], 4, v[6:7]
	v_add_co_u32_e64 v81, s[0:1], v9, v1
	v_addc_co_u32_e64 v82, s[0:1], v10, v2, s[0:1]
	global_load_dwordx4 v[1:4], v[53:54], off
	global_load_dwordx4 v[5:8], v[59:60], off
	;; [unrolled: 1-line block ×13, first 2 shown]
.LBB0_8:
	s_or_b64 exec, exec, s[6:7]
	v_mov_b32_e32 v54, s24
	v_add_co_u32_e64 v53, s[0:1], s23, v94
	s_load_dwordx2 s[16:17], s[4:5], 0x0
	v_addc_co_u32_e64 v54, s[0:1], 0, v54, s[0:1]
	v_cmp_gt_u64_e64 s[0:1], s[18:19], v[53:54]
	s_xor_b64 s[6:7], vcc, -1
	s_and_b64 s[18:19], s[2:3], s[0:1]
	s_and_b64 s[6:7], s[6:7], s[18:19]
	s_and_saveexec_b64 s[18:19], s[6:7]
	s_cbranch_execz .LBB0_10
; %bb.9:
	s_waitcnt vmcnt(12)
	v_mad_u64_u32 v[1:2], s[6:7], s10, v94, 0
	v_mad_u64_u32 v[3:4], s[6:7], s8, v95, 0
	s_waitcnt vmcnt(8)
	v_add_u32_e32 v25, 0x50, v95
	s_waitcnt vmcnt(0)
	v_add_u32_e32 v33, 0x70, v95
	v_mad_u64_u32 v[5:6], s[6:7], s11, v94, v[2:3]
	v_mov_b32_e32 v2, v4
	v_mad_u64_u32 v[6:7], s[6:7], s9, v95, v[2:3]
	s_lshl_b64 s[6:7], s[14:15], 4
	s_add_u32 s20, s12, s6
	s_addc_u32 s6, s13, s7
	v_mov_b32_e32 v2, v5
	v_mov_b32_e32 v4, v6
	;; [unrolled: 1-line block ×3, first 2 shown]
	v_mad_u64_u32 v[5:6], s[6:7], s8, v58, 0
	v_lshlrev_b64 v[1:2], 4, v[1:2]
	v_add_u32_e32 v42, 0x90, v95
	v_add_co_u32_e64 v59, s[6:7], s20, v1
	v_addc_co_u32_e64 v60, s[6:7], v7, v2, s[6:7]
	v_lshlrev_b64 v[1:2], 4, v[3:4]
	v_mov_b32_e32 v3, v6
	v_mad_u64_u32 v[3:4], s[6:7], s9, v58, v[3:4]
	v_add_co_u32_e64 v9, s[6:7], v59, v1
	v_addc_co_u32_e64 v10, s[6:7], v60, v2, s[6:7]
	v_mad_u64_u32 v[11:12], s[6:7], s8, v57, 0
	v_mov_b32_e32 v6, v3
	v_lshlrev_b64 v[1:2], 4, v[5:6]
	v_add_u32_e32 v49, 0xb0, v95
	v_add_co_u32_e64 v13, s[6:7], v59, v1
	v_mov_b32_e32 v1, v12
	v_addc_co_u32_e64 v14, s[6:7], v60, v2, s[6:7]
	v_mad_u64_u32 v[15:16], s[6:7], s9, v57, v[1:2]
	v_mad_u64_u32 v[16:17], s[6:7], s8, v56, 0
	v_mov_b32_e32 v12, v15
	global_load_dwordx4 v[1:4], v[9:10], off
	global_load_dwordx4 v[5:8], v[13:14], off
	v_lshlrev_b64 v[9:10], 4, v[11:12]
	v_mov_b32_e32 v11, v17
	v_mad_u64_u32 v[11:12], s[6:7], s9, v56, v[11:12]
	v_add_co_u32_e64 v9, s[6:7], v59, v9
	v_addc_co_u32_e64 v10, s[6:7], v60, v10, s[6:7]
	v_mov_b32_e32 v17, v11
	v_mad_u64_u32 v[13:14], s[6:7], s8, v55, 0
	v_lshlrev_b64 v[11:12], 4, v[16:17]
	v_add_co_u32_e64 v11, s[6:7], v59, v11
	v_addc_co_u32_e64 v12, s[6:7], v60, v12, s[6:7]
	v_mad_u64_u32 v[14:15], s[6:7], s9, v55, v[14:15]
	v_mad_u64_u32 v[15:16], s[6:7], s8, v25, 0
	global_load_dwordx4 v[21:24], v[9:10], off
	global_load_dwordx4 v[17:20], v[11:12], off
	v_lshlrev_b64 v[9:10], 4, v[13:14]
	v_mov_b32_e32 v11, v16
	v_mad_u64_u32 v[11:12], s[6:7], s9, v25, v[11:12]
	v_add_co_u32_e64 v9, s[6:7], v59, v9
	v_mov_b32_e32 v16, v11
	v_lshlrev_b64 v[11:12], 4, v[15:16]
	v_or_b32_e32 v15, 0x60, v95
	v_addc_co_u32_e64 v10, s[6:7], v60, v10, s[6:7]
	v_mad_u64_u32 v[13:14], s[6:7], s8, v15, 0
	v_add_co_u32_e64 v11, s[6:7], v59, v11
	v_addc_co_u32_e64 v12, s[6:7], v60, v12, s[6:7]
	v_mad_u64_u32 v[14:15], s[6:7], s9, v15, v[14:15]
	v_mad_u64_u32 v[15:16], s[6:7], s8, v33, 0
	global_load_dwordx4 v[25:28], v[9:10], off
	global_load_dwordx4 v[29:32], v[11:12], off
	v_lshlrev_b64 v[9:10], 4, v[13:14]
	v_mov_b32_e32 v11, v16
	v_mad_u64_u32 v[11:12], s[6:7], s9, v33, v[11:12]
	v_add_co_u32_e64 v33, s[6:7], v59, v9
	v_mov_b32_e32 v16, v11
	v_or_b32_e32 v11, 0x80, v95
	v_addc_co_u32_e64 v34, s[6:7], v60, v10, s[6:7]
	v_mad_u64_u32 v[35:36], s[6:7], s8, v11, 0
	v_lshlrev_b64 v[9:10], 4, v[15:16]
	v_add_co_u32_e64 v37, s[6:7], v59, v9
	v_mov_b32_e32 v9, v36
	v_addc_co_u32_e64 v38, s[6:7], v60, v10, s[6:7]
	v_mad_u64_u32 v[39:40], s[6:7], s9, v11, v[9:10]
	v_mad_u64_u32 v[40:41], s[6:7], s8, v42, 0
	v_mov_b32_e32 v36, v39
	global_load_dwordx4 v[9:12], v[33:34], off
	global_load_dwordx4 v[13:16], v[37:38], off
	v_lshlrev_b64 v[33:34], 4, v[35:36]
	v_mov_b32_e32 v35, v41
	v_mad_u64_u32 v[35:36], s[6:7], s9, v42, v[35:36]
	v_add_co_u32_e64 v33, s[6:7], v59, v33
	v_or_b32_e32 v39, 0xa0, v95
	v_addc_co_u32_e64 v34, s[6:7], v60, v34, s[6:7]
	v_mov_b32_e32 v41, v35
	v_mad_u64_u32 v[37:38], s[6:7], s8, v39, 0
	v_lshlrev_b64 v[35:36], 4, v[40:41]
	v_add_co_u32_e64 v35, s[6:7], v59, v35
	v_addc_co_u32_e64 v36, s[6:7], v60, v36, s[6:7]
	v_mad_u64_u32 v[38:39], s[6:7], s9, v39, v[38:39]
	v_mad_u64_u32 v[39:40], s[6:7], s8, v49, 0
	global_load_dwordx4 v[45:48], v[33:34], off
	global_load_dwordx4 v[41:44], v[35:36], off
	v_lshlrev_b64 v[33:34], 4, v[37:38]
	v_or_b32_e32 v38, 0xc0, v95
	v_mov_b32_e32 v35, v40
	v_mad_u64_u32 v[54:55], s[6:7], s8, v38, 0
	v_mad_u64_u32 v[35:36], s[6:7], s9, v49, v[35:36]
	v_add_co_u32_e64 v33, s[6:7], v59, v33
	v_mov_b32_e32 v37, v55
	v_addc_co_u32_e64 v34, s[6:7], v60, v34, s[6:7]
	v_mov_b32_e32 v40, v35
	v_mad_u64_u32 v[55:56], s[6:7], s9, v38, v[37:38]
	v_lshlrev_b64 v[35:36], 4, v[39:40]
	v_add_co_u32_e64 v35, s[6:7], v59, v35
	v_addc_co_u32_e64 v36, s[6:7], v60, v36, s[6:7]
	global_load_dwordx4 v[49:52], v[33:34], off
	global_load_dwordx4 v[37:40], v[35:36], off
	v_lshlrev_b64 v[33:34], 4, v[54:55]
	v_add_co_u32_e64 v33, s[6:7], v59, v33
	v_addc_co_u32_e64 v34, s[6:7], v60, v34, s[6:7]
	global_load_dwordx4 v[33:36], v[33:34], off
.LBB0_10:
	s_or_b64 exec, exec, s[18:19]
	s_and_saveexec_b64 s[6:7], s[2:3]
	s_cbranch_execz .LBB0_12
; %bb.11:
	s_waitcnt vmcnt(11)
	v_add_f64 v[60:61], v[7:8], v[3:4]
	v_add_f64 v[62:63], v[5:6], v[1:2]
	s_waitcnt vmcnt(2)
	v_add_f64 v[80:81], v[17:18], -v[49:50]
	v_add_f64 v[78:79], v[17:18], v[49:50]
	s_waitcnt vmcnt(0)
	v_add_f64 v[92:93], v[5:6], -v[33:34]
	v_add_f64 v[90:91], v[5:6], v[33:34]
	v_add_f64 v[68:69], v[19:20], v[51:52]
	s_mov_b32 s2, 0x4bc48dbf
	v_add_f64 v[70:71], v[23:24], v[60:61]
	v_add_f64 v[76:77], v[21:22], v[62:63]
	s_mov_b32 s20, 0x93053d00
	s_mov_b32 s3, 0xbfcea1e5
	;; [unrolled: 1-line block ×3, first 2 shown]
	v_add_f64 v[84:85], v[21:22], -v[37:38]
	v_add_f64 v[82:83], v[37:38], v[21:22]
	s_mov_b32 s18, 0x4267c47c
	v_add_f64 v[86:87], v[19:20], v[70:71]
	v_add_f64 v[88:89], v[17:18], v[76:77]
	v_add_f64 v[70:71], v[19:20], -v[51:52]
	s_mov_b32 s22, 0xe00740e9
	s_mov_b32 s19, 0x3fddbe06
	;; [unrolled: 1-line block ×5, first 2 shown]
	v_add_f64 v[17:18], v[27:28], v[86:87]
	v_add_f64 v[19:20], v[25:26], v[88:89]
	;; [unrolled: 1-line block ×3, first 2 shown]
	v_add_f64 v[86:87], v[7:8], -v[35:36]
	v_add_f64 v[66:67], v[29:30], -v[45:46]
	v_add_f64 v[58:59], v[47:48], v[31:32]
	v_add_f64 v[64:65], v[45:46], v[29:30]
	v_add_f64 v[56:57], v[31:32], -v[47:48]
	v_add_f64 v[5:6], v[31:32], v[17:18]
	v_add_f64 v[7:8], v[29:30], v[19:20]
	v_mul_f64 v[17:18], v[92:93], s[2:3]
	v_mul_f64 v[19:20], v[90:91], s[20:21]
	v_add_f64 v[74:75], v[25:26], -v[41:42]
	v_add_f64 v[72:73], v[25:26], v[41:42]
	v_add_f64 v[76:77], v[39:40], v[23:24]
	v_add_f64 v[21:22], v[23:24], -v[39:40]
	v_add_f64 v[5:6], v[11:12], v[5:6]
	v_add_f64 v[7:8], v[9:10], v[7:8]
	v_mul_f64 v[29:30], v[84:85], s[18:19]
	v_mul_f64 v[31:32], v[82:83], s[22:23]
	v_fma_f64 v[23:24], v[88:89], s[20:21], v[17:18]
	v_fma_f64 v[25:26], v[86:87], s[26:27], v[19:20]
	s_mov_b32 s24, 0xd0032e0c
	s_mov_b32 s25, 0xbfe7f3cc
	v_add_f64 v[5:6], v[15:16], v[5:6]
	s_mov_b32 s31, 0xbfddbe06
	s_mov_b32 s30, s18
	v_add_f64 v[62:63], v[27:28], v[43:44]
	v_add_f64 v[60:61], v[27:28], -v[43:44]
	v_add_f64 v[7:8], v[13:14], v[7:8]
	v_fma_f64 v[27:28], v[76:77], s[22:23], v[29:30]
	v_add_f64 v[23:24], v[23:24], v[3:4]
	v_add_f64 v[5:6], v[47:48], v[5:6]
	v_fma_f64 v[47:48], v[21:22], s[30:31], v[31:32]
	v_add_f64 v[25:26], v[25:26], v[1:2]
	s_mov_b32 s28, 0x24c2f84
	s_mov_b32 s42, 0x1ea71119
	s_mov_b32 s29, 0xbfe5384d
	s_mov_b32 s35, 0x3fe5384d
	s_mov_b32 s34, s28
	v_add_f64 v[5:6], v[43:44], v[5:6]
	v_mul_f64 v[43:44], v[78:79], s[24:25]
	s_mov_b32 s43, 0x3fe22d96
	v_add_f64 v[7:8], v[45:46], v[7:8]
	v_mul_f64 v[45:46], v[80:81], s[28:29]
	v_add_f64 v[23:24], v[23:24], v[27:28]
	v_add_f64 v[25:26], v[47:48], v[25:26]
	v_mul_f64 v[47:48], v[72:73], s[42:43]
	s_mov_b32 s36, 0x42a4c3d2
	v_fma_f64 v[27:28], v[70:71], s[34:35], v[43:44]
	s_mov_b32 s37, 0x3fea55e2
	s_mov_b32 s51, 0xbfea55e2
	;; [unrolled: 1-line block ×3, first 2 shown]
	v_add_f64 v[7:8], v[41:42], v[7:8]
	v_mul_f64 v[41:42], v[74:75], s[36:37]
	v_fma_f64 v[96:97], v[68:69], s[24:25], v[45:46]
	s_mov_b32 s44, 0x2ef20147
	v_add_f64 v[25:26], v[27:28], v[25:26]
	v_fma_f64 v[27:28], v[60:61], s[50:51], v[47:48]
	s_mov_b32 s45, 0xbfedeba7
	v_add_f64 v[54:55], v[9:10], -v[13:14]
	v_add_f64 v[5:6], v[51:52], v[5:6]
	v_add_f64 v[7:8], v[49:50], v[7:8]
	v_fma_f64 v[49:50], v[62:63], s[42:43], v[41:42]
	v_add_f64 v[23:24], v[96:97], v[23:24]
	v_mul_f64 v[51:52], v[66:67], s[44:45]
	v_add_f64 v[98:99], v[27:28], v[25:26]
	v_add_f64 v[25:26], v[9:10], v[13:14]
	v_fma_f64 v[9:10], v[88:89], s[20:21], -v[17:18]
	s_mov_b32 s38, 0xb2365da1
	s_mov_b32 s46, 0x66966769
	;; [unrolled: 1-line block ×4, first 2 shown]
	v_mul_f64 v[96:97], v[64:65], s[38:39]
	v_add_f64 v[5:6], v[39:40], v[5:6]
	v_add_f64 v[37:38], v[37:38], v[7:8]
	;; [unrolled: 1-line block ×3, first 2 shown]
	v_fma_f64 v[49:50], v[58:59], s[38:39], v[51:52]
	v_add_f64 v[23:24], v[11:12], v[15:16]
	v_add_f64 v[27:28], v[11:12], -v[15:16]
	v_fma_f64 v[15:16], v[76:77], s[22:23], -v[29:30]
	v_fma_f64 v[17:18], v[86:87], s[2:3], v[19:20]
	v_add_f64 v[9:10], v[9:10], v[3:4]
	v_mul_f64 v[19:20], v[54:55], s[46:47]
	s_mov_b32 s48, 0xebaa3ed8
	s_mov_b32 s41, 0x3fedeba7
	;; [unrolled: 1-line block ×4, first 2 shown]
	v_fma_f64 v[100:101], v[56:57], s[40:41], v[96:97]
	v_add_f64 v[7:8], v[35:36], v[5:6]
	v_add_f64 v[5:6], v[33:34], v[37:38]
	;; [unrolled: 1-line block ×3, first 2 shown]
	v_fma_f64 v[29:30], v[21:22], s[18:19], v[31:32]
	v_add_f64 v[17:18], v[17:18], v[1:2]
	v_mul_f64 v[31:32], v[25:26], s[48:49]
	v_add_f64 v[9:10], v[9:10], v[15:16]
	v_fma_f64 v[15:16], v[68:69], s[24:25], -v[45:46]
	v_fma_f64 v[33:34], v[23:24], s[48:49], v[19:20]
	v_mul_f64 v[35:36], v[92:93], s[28:29]
	s_mov_b32 s53, 0xbfefc445
	s_mov_b32 s52, s46
	v_add_f64 v[13:14], v[100:101], v[98:99]
	v_add_f64 v[17:18], v[29:30], v[17:18]
	v_fma_f64 v[29:30], v[70:71], s[28:29], v[43:44]
	v_fma_f64 v[37:38], v[27:28], s[52:53], v[31:32]
	v_add_f64 v[15:16], v[15:16], v[9:10]
	v_fma_f64 v[39:40], v[62:63], s[42:43], -v[41:42]
	v_add_f64 v[11:12], v[33:34], v[11:12]
	v_fma_f64 v[33:34], v[88:89], s[24:25], v[35:36]
	v_mul_f64 v[41:42], v[84:85], s[46:47]
	v_mul_f64 v[43:44], v[90:91], s[24:25]
	v_add_f64 v[17:18], v[29:30], v[17:18]
	v_fma_f64 v[29:30], v[60:61], s[36:37], v[47:48]
	v_add_f64 v[9:10], v[37:38], v[13:14]
	v_add_f64 v[13:14], v[39:40], v[15:16]
	v_fma_f64 v[15:16], v[58:59], s[38:39], -v[51:52]
	v_add_f64 v[33:34], v[33:34], v[3:4]
	v_fma_f64 v[37:38], v[76:77], s[48:49], v[41:42]
	v_fma_f64 v[39:40], v[86:87], s[34:35], v[43:44]
	v_mul_f64 v[45:46], v[82:83], s[48:49]
	v_add_f64 v[17:18], v[29:30], v[17:18]
	v_mul_f64 v[29:30], v[80:81], s[50:51]
	v_fma_f64 v[47:48], v[56:57], s[44:45], v[96:97]
	v_add_f64 v[13:14], v[15:16], v[13:14]
	v_fma_f64 v[15:16], v[23:24], s[48:49], -v[19:20]
	v_add_f64 v[19:20], v[33:34], v[37:38]
	v_add_f64 v[33:34], v[39:40], v[1:2]
	v_fma_f64 v[37:38], v[21:22], s[52:53], v[45:46]
	v_mul_f64 v[39:40], v[78:79], s[42:43]
	v_fma_f64 v[49:50], v[68:69], s[42:43], v[29:30]
	v_add_f64 v[17:18], v[47:48], v[17:18]
	v_fma_f64 v[31:32], v[27:28], s[46:47], v[31:32]
	v_mul_f64 v[47:48], v[74:75], s[26:27]
	v_fma_f64 v[35:36], v[88:89], s[24:25], -v[35:36]
	v_add_f64 v[15:16], v[15:16], v[13:14]
	v_add_f64 v[33:34], v[37:38], v[33:34]
	v_fma_f64 v[37:38], v[70:71], s[36:37], v[39:40]
	v_add_f64 v[19:20], v[49:50], v[19:20]
	v_mul_f64 v[49:50], v[72:73], s[20:21]
	v_add_f64 v[13:14], v[31:32], v[17:18]
	v_fma_f64 v[51:52], v[62:63], s[20:21], v[47:48]
	v_fma_f64 v[41:42], v[76:77], s[48:49], -v[41:42]
	v_add_f64 v[35:36], v[35:36], v[3:4]
	v_mul_f64 v[17:18], v[66:67], s[18:19]
	v_add_f64 v[31:32], v[37:38], v[33:34]
	v_fma_f64 v[33:34], v[86:87], s[28:29], v[43:44]
	v_fma_f64 v[37:38], v[60:61], s[2:3], v[49:50]
	v_mul_f64 v[43:44], v[64:65], s[22:23]
	v_fma_f64 v[45:46], v[21:22], s[46:47], v[45:46]
	v_add_f64 v[19:20], v[51:52], v[19:20]
	v_add_f64 v[35:36], v[35:36], v[41:42]
	v_fma_f64 v[29:30], v[68:69], s[42:43], -v[29:30]
	v_fma_f64 v[41:42], v[58:59], s[22:23], v[17:18]
	v_add_f64 v[33:34], v[33:34], v[1:2]
	v_add_f64 v[31:32], v[37:38], v[31:32]
	v_fma_f64 v[37:38], v[56:57], s[30:31], v[43:44]
	v_mul_f64 v[51:52], v[54:55], s[44:45]
	v_fma_f64 v[39:40], v[70:71], s[50:51], v[39:40]
	v_mul_f64 v[96:97], v[25:26], s[38:39]
	v_add_f64 v[29:30], v[29:30], v[35:36]
	v_fma_f64 v[35:36], v[62:63], s[20:21], -v[47:48]
	v_add_f64 v[33:34], v[45:46], v[33:34]
	v_add_f64 v[19:20], v[41:42], v[19:20]
	;; [unrolled: 1-line block ×3, first 2 shown]
	v_fma_f64 v[37:38], v[23:24], s[38:39], v[51:52]
	v_mul_f64 v[41:42], v[92:93], s[44:45]
	v_fma_f64 v[45:46], v[27:28], s[40:41], v[96:97]
	v_mul_f64 v[47:48], v[90:91], s[38:39]
	v_add_f64 v[29:30], v[35:36], v[29:30]
	v_add_f64 v[33:34], v[39:40], v[33:34]
	v_fma_f64 v[39:40], v[60:61], s[26:27], v[49:50]
	v_fma_f64 v[35:36], v[58:59], s[22:23], -v[17:18]
	v_add_f64 v[19:20], v[37:38], v[19:20]
	v_fma_f64 v[37:38], v[88:89], s[38:39], v[41:42]
	v_mul_f64 v[49:50], v[84:85], s[34:35]
	v_add_f64 v[17:18], v[45:46], v[31:32]
	v_fma_f64 v[31:32], v[86:87], s[40:41], v[47:48]
	v_mul_f64 v[45:46], v[80:81], s[18:19]
	v_add_f64 v[33:34], v[39:40], v[33:34]
	v_fma_f64 v[39:40], v[56:57], s[18:19], v[43:44]
	v_add_f64 v[29:30], v[35:36], v[29:30]
	v_mul_f64 v[35:36], v[82:83], s[24:25]
	v_add_f64 v[37:38], v[37:38], v[3:4]
	v_fma_f64 v[43:44], v[76:77], s[24:25], v[49:50]
	v_fma_f64 v[51:52], v[23:24], s[38:39], -v[51:52]
	v_add_f64 v[98:99], v[31:32], v[1:2]
	v_mul_f64 v[102:103], v[78:79], s[22:23]
	v_add_f64 v[33:34], v[39:40], v[33:34]
	v_fma_f64 v[39:40], v[27:28], s[44:45], v[96:97]
	v_fma_f64 v[100:101], v[21:22], s[28:29], v[35:36]
	v_mul_f64 v[96:97], v[74:75], s[52:53]
	v_add_f64 v[37:38], v[37:38], v[43:44]
	v_fma_f64 v[43:44], v[68:69], s[22:23], v[45:46]
	v_add_f64 v[31:32], v[51:52], v[29:30]
	v_fma_f64 v[49:50], v[76:77], s[24:25], -v[49:50]
	v_fma_f64 v[35:36], v[21:22], s[34:35], v[35:36]
	v_add_f64 v[29:30], v[39:40], v[33:34]
	v_fma_f64 v[33:34], v[88:89], s[38:39], -v[41:42]
	v_add_f64 v[51:52], v[100:101], v[98:99]
	v_fma_f64 v[98:99], v[70:71], s[30:31], v[102:103]
	v_mul_f64 v[100:101], v[72:73], s[48:49]
	v_add_f64 v[37:38], v[43:44], v[37:38]
	v_fma_f64 v[39:40], v[62:63], s[48:49], v[96:97]
	v_fma_f64 v[41:42], v[86:87], s[44:45], v[47:48]
	v_mul_f64 v[43:44], v[66:67], s[26:27]
	v_add_f64 v[33:34], v[33:34], v[3:4]
	v_mul_f64 v[104:105], v[54:55], s[36:37]
	v_add_f64 v[47:48], v[98:99], v[51:52]
	v_fma_f64 v[51:52], v[60:61], s[46:47], v[100:101]
	v_mul_f64 v[98:99], v[64:65], s[20:21]
	v_add_f64 v[37:38], v[39:40], v[37:38]
	v_add_f64 v[41:42], v[41:42], v[1:2]
	v_fma_f64 v[39:40], v[58:59], s[20:21], v[43:44]
	v_add_f64 v[33:34], v[33:34], v[49:50]
	v_fma_f64 v[45:46], v[68:69], s[22:23], -v[45:46]
	v_fma_f64 v[43:44], v[58:59], s[20:21], -v[43:44]
	v_add_f64 v[47:48], v[51:52], v[47:48]
	v_fma_f64 v[49:50], v[56:57], s[2:3], v[98:99]
	v_mul_f64 v[51:52], v[92:93], s[52:53]
	v_add_f64 v[35:36], v[35:36], v[41:42]
	v_fma_f64 v[41:42], v[70:71], s[18:19], v[102:103]
	v_add_f64 v[37:38], v[39:40], v[37:38]
	v_fma_f64 v[39:40], v[23:24], s[42:43], v[104:105]
	v_mul_f64 v[102:103], v[25:26], s[42:43]
	v_add_f64 v[33:34], v[45:46], v[33:34]
	v_fma_f64 v[45:46], v[62:63], s[48:49], -v[96:97]
	v_add_f64 v[47:48], v[49:50], v[47:48]
	v_fma_f64 v[49:50], v[60:61], s[52:53], v[100:101]
	v_add_f64 v[41:42], v[41:42], v[35:36]
	v_mul_f64 v[100:101], v[90:91], s[48:49]
	v_add_f64 v[35:36], v[39:40], v[37:38]
	v_fma_f64 v[37:38], v[88:89], s[48:49], v[51:52]
	v_mul_f64 v[39:40], v[84:85], s[2:3]
	v_fma_f64 v[96:97], v[27:28], s[50:51], v[102:103]
	v_add_f64 v[45:46], v[45:46], v[33:34]
	v_fma_f64 v[51:52], v[88:89], s[48:49], -v[51:52]
	v_add_f64 v[41:42], v[49:50], v[41:42]
	v_fma_f64 v[49:50], v[56:57], s[26:27], v[98:99]
	v_mul_f64 v[106:107], v[78:79], s[38:39]
	v_add_f64 v[37:38], v[37:38], v[3:4]
	v_fma_f64 v[98:99], v[76:77], s[20:21], v[39:40]
	v_add_f64 v[33:34], v[96:97], v[47:48]
	v_mul_f64 v[47:48], v[80:81], s[40:41]
	v_add_f64 v[43:44], v[43:44], v[45:46]
	v_fma_f64 v[45:46], v[86:87], s[46:47], v[100:101]
	v_mul_f64 v[96:97], v[82:83], s[20:21]
	v_fma_f64 v[100:101], v[86:87], s[52:53], v[100:101]
	v_add_f64 v[41:42], v[49:50], v[41:42]
	v_fma_f64 v[49:50], v[23:24], s[42:43], -v[104:105]
	v_add_f64 v[37:38], v[37:38], v[98:99]
	v_fma_f64 v[98:99], v[68:69], s[38:39], v[47:48]
	v_fma_f64 v[39:40], v[76:77], s[20:21], -v[39:40]
	v_add_f64 v[45:46], v[45:46], v[1:2]
	v_fma_f64 v[104:105], v[21:22], s[26:27], v[96:97]
	v_add_f64 v[51:52], v[51:52], v[3:4]
	v_fma_f64 v[96:97], v[21:22], s[2:3], v[96:97]
	v_add_f64 v[100:101], v[100:101], v[1:2]
	v_mul_f64 v[108:109], v[74:75], s[18:19]
	v_add_f64 v[37:38], v[98:99], v[37:38]
	v_fma_f64 v[98:99], v[70:71], s[44:45], v[106:107]
	v_fma_f64 v[47:48], v[68:69], s[38:39], -v[47:48]
	v_add_f64 v[45:46], v[104:105], v[45:46]
	v_mul_f64 v[104:105], v[72:73], s[22:23]
	v_add_f64 v[39:40], v[51:52], v[39:40]
	v_add_f64 v[51:52], v[96:97], v[100:101]
	v_fma_f64 v[96:97], v[70:71], s[40:41], v[106:107]
	v_fma_f64 v[110:111], v[62:63], s[22:23], v[108:109]
	v_mul_f64 v[100:101], v[66:67], s[50:51]
	v_mul_f64 v[106:107], v[64:65], s[42:43]
	v_add_f64 v[45:46], v[98:99], v[45:46]
	v_fma_f64 v[98:99], v[60:61], s[30:31], v[104:105]
	v_add_f64 v[39:40], v[47:48], v[39:40]
	v_fma_f64 v[47:48], v[62:63], s[22:23], -v[108:109]
	v_add_f64 v[51:52], v[96:97], v[51:52]
	v_fma_f64 v[96:97], v[60:61], s[18:19], v[104:105]
	v_add_f64 v[37:38], v[110:111], v[37:38]
	v_fma_f64 v[104:105], v[58:59], s[42:43], v[100:101]
	v_mul_f64 v[108:109], v[54:55], s[28:29]
	v_add_f64 v[45:46], v[98:99], v[45:46]
	v_fma_f64 v[98:99], v[56:57], s[36:37], v[106:107]
	v_mul_f64 v[110:111], v[25:26], s[24:25]
	v_add_f64 v[47:48], v[47:48], v[39:40]
	v_fma_f64 v[100:101], v[58:59], s[42:43], -v[100:101]
	v_add_f64 v[51:52], v[96:97], v[51:52]
	v_fma_f64 v[96:97], v[56:57], s[50:51], v[106:107]
	v_fma_f64 v[102:103], v[27:28], s[36:37], v[102:103]
	v_add_f64 v[39:40], v[49:50], v[43:44]
	v_add_f64 v[43:44], v[104:105], v[37:38]
	;; [unrolled: 1-line block ×3, first 2 shown]
	v_fma_f64 v[49:50], v[23:24], s[24:25], v[108:109]
	v_fma_f64 v[98:99], v[27:28], s[34:35], v[110:111]
	v_add_f64 v[47:48], v[100:101], v[47:48]
	v_add_f64 v[51:52], v[96:97], v[51:52]
	v_fma_f64 v[96:97], v[23:24], s[24:25], -v[108:109]
	v_fma_f64 v[100:101], v[27:28], s[28:29], v[110:111]
	v_mul_f64 v[104:105], v[92:93], s[50:51]
	v_add_f64 v[37:38], v[102:103], v[41:42]
	v_add_f64 v[43:44], v[49:50], v[43:44]
	v_mul_f64 v[49:50], v[92:93], s[30:31]
	v_add_f64 v[41:42], v[98:99], v[45:46]
	v_mul_f64 v[92:93], v[90:91], s[42:43]
	v_add_f64 v[47:48], v[96:97], v[47:48]
	v_add_f64 v[45:46], v[100:101], v[51:52]
	v_fma_f64 v[51:52], v[88:89], s[42:43], v[104:105]
	v_mul_f64 v[96:97], v[84:85], s[44:45]
	v_fma_f64 v[98:99], v[88:89], s[42:43], -v[104:105]
	v_fma_f64 v[100:101], v[88:89], s[22:23], v[49:50]
	v_fma_f64 v[49:50], v[88:89], s[22:23], -v[49:50]
	v_mul_f64 v[88:89], v[90:91], s[22:23]
	v_mul_f64 v[106:107], v[80:81], s[2:3]
	v_fma_f64 v[102:103], v[86:87], s[36:37], v[92:93]
	v_add_f64 v[51:52], v[51:52], v[3:4]
	v_fma_f64 v[90:91], v[76:77], s[38:39], v[96:97]
	v_fma_f64 v[92:93], v[86:87], s[50:51], v[92:93]
	v_mul_f64 v[104:105], v[82:83], s[38:39]
	v_mul_f64 v[116:117], v[66:67], s[46:47]
	v_fma_f64 v[112:113], v[86:87], s[18:19], v[88:89]
	v_fma_f64 v[86:87], v[86:87], s[30:31], v[88:89]
	;; [unrolled: 1-line block ×3, first 2 shown]
	v_add_f64 v[98:99], v[98:99], v[3:4]
	v_add_f64 v[51:52], v[51:52], v[90:91]
	v_mul_f64 v[90:91], v[74:75], s[34:35]
	v_fma_f64 v[96:97], v[76:77], s[38:39], -v[96:97]
	v_add_f64 v[102:103], v[102:103], v[1:2]
	v_mul_f64 v[110:111], v[78:79], s[20:21]
	v_add_f64 v[92:93], v[92:93], v[1:2]
	v_add_f64 v[112:113], v[112:113], v[1:2]
	v_add_f64 v[1:2], v[86:87], v[1:2]
	v_add_f64 v[51:52], v[88:89], v[51:52]
	v_fma_f64 v[88:89], v[62:63], s[24:25], v[90:91]
	v_fma_f64 v[86:87], v[21:22], s[44:45], v[104:105]
	v_mul_f64 v[84:85], v[84:85], s[50:51]
	v_add_f64 v[96:97], v[98:99], v[96:97]
	v_fma_f64 v[98:99], v[68:69], s[20:21], -v[106:107]
	v_mul_f64 v[82:83], v[82:83], s[42:43]
	v_add_f64 v[100:101], v[100:101], v[3:4]
	v_add_f64 v[3:4], v[49:50], v[3:4]
	;; [unrolled: 1-line block ×3, first 2 shown]
	v_fma_f64 v[88:89], v[58:59], s[48:49], v[116:117]
	v_add_f64 v[86:87], v[86:87], v[92:93]
	v_fma_f64 v[92:93], v[76:77], s[42:43], -v[84:85]
	v_mul_f64 v[80:81], v[80:81], s[52:53]
	v_add_f64 v[96:97], v[98:99], v[96:97]
	v_fma_f64 v[90:91], v[62:63], s[24:25], -v[90:91]
	v_fma_f64 v[98:99], v[21:22], s[50:51], v[82:83]
	v_mul_f64 v[78:79], v[78:79], s[48:49]
	v_add_f64 v[51:52], v[88:89], v[51:52]
	v_fma_f64 v[88:89], v[70:71], s[2:3], v[110:111]
	v_add_f64 v[3:4], v[3:4], v[92:93]
	v_mul_f64 v[74:75], v[74:75], s[44:45]
	v_mul_f64 v[114:115], v[72:73], s[24:25]
	v_add_f64 v[90:91], v[90:91], v[96:97]
	v_add_f64 v[1:2], v[98:99], v[1:2]
	v_fma_f64 v[96:97], v[70:71], s[52:53], v[78:79]
	v_mul_f64 v[72:73], v[72:73], s[38:39]
	v_add_f64 v[86:87], v[88:89], v[86:87]
	v_fma_f64 v[88:89], v[68:69], s[48:49], -v[80:81]
	v_mul_f64 v[66:67], v[66:67], s[28:29]
	v_fma_f64 v[76:77], v[76:77], s[42:43], v[84:85]
	v_fma_f64 v[108:109], v[21:22], s[40:41], v[104:105]
	v_mul_f64 v[49:50], v[64:65], s[48:49]
	v_add_f64 v[1:2], v[96:97], v[1:2]
	v_fma_f64 v[84:85], v[60:61], s[44:45], v[72:73]
	v_mul_f64 v[64:65], v[64:65], s[24:25]
	v_add_f64 v[3:4], v[88:89], v[3:4]
	v_fma_f64 v[88:89], v[62:63], s[38:39], -v[74:75]
	v_fma_f64 v[21:22], v[21:22], s[36:37], v[82:83]
	v_fma_f64 v[82:83], v[58:59], s[24:25], -v[66:67]
	v_fma_f64 v[68:69], v[68:69], s[48:49], v[80:81]
	v_add_f64 v[76:77], v[100:101], v[76:77]
	v_add_f64 v[102:103], v[108:109], v[102:103]
	v_fma_f64 v[108:109], v[70:71], s[26:27], v[110:111]
	v_add_f64 v[1:2], v[84:85], v[1:2]
	v_add_f64 v[3:4], v[88:89], v[3:4]
	v_fma_f64 v[80:81], v[56:57], s[28:29], v[64:65]
	v_fma_f64 v[70:71], v[70:71], s[46:47], v[78:79]
	v_add_f64 v[21:22], v[21:22], v[112:113]
	v_fma_f64 v[92:93], v[60:61], s[34:35], v[114:115]
	v_fma_f64 v[98:99], v[58:59], s[48:49], -v[116:117]
	v_add_f64 v[102:103], v[108:109], v[102:103]
	v_fma_f64 v[108:109], v[60:61], s[28:29], v[114:115]
	v_add_f64 v[78:79], v[82:83], v[3:4]
	v_fma_f64 v[3:4], v[62:63], s[38:39], v[74:75]
	v_add_f64 v[62:63], v[68:69], v[76:77]
	v_add_f64 v[68:69], v[80:81], v[1:2]
	v_fma_f64 v[1:2], v[60:61], s[40:41], v[72:73]
	v_add_f64 v[21:22], v[70:71], v[21:22]
	v_mul_f64 v[60:61], v[54:55], s[18:19]
	v_fma_f64 v[58:59], v[58:59], s[24:25], v[66:67]
	v_mul_f64 v[54:55], v[54:55], s[2:3]
	v_mul_f64 v[66:67], v[25:26], s[22:23]
	v_mul_f64 v[25:26], v[25:26], s[20:21]
	v_fma_f64 v[104:105], v[56:57], s[52:53], v[49:50]
	v_add_f64 v[86:87], v[92:93], v[86:87]
	v_fma_f64 v[49:50], v[56:57], s[46:47], v[49:50]
	v_add_f64 v[3:4], v[3:4], v[62:63]
	v_add_f64 v[102:103], v[108:109], v[102:103]
	v_fma_f64 v[56:57], v[56:57], s[34:35], v[64:65]
	v_add_f64 v[1:2], v[1:2], v[21:22]
	v_fma_f64 v[21:22], v[23:24], s[20:21], -v[54:55]
	v_fma_f64 v[70:71], v[27:28], s[2:3], v[25:26]
	v_add_f64 v[84:85], v[98:99], v[90:91]
	v_add_f64 v[49:50], v[49:50], v[86:87]
	v_fma_f64 v[62:63], v[23:24], s[22:23], v[60:61]
	v_fma_f64 v[60:61], v[23:24], s[22:23], -v[60:61]
	v_fma_f64 v[64:65], v[27:28], s[30:31], v[66:67]
	v_fma_f64 v[66:67], v[27:28], s[18:19], v[66:67]
	;; [unrolled: 1-line block ×3, first 2 shown]
	v_add_f64 v[58:59], v[58:59], v[3:4]
	v_add_f64 v[102:103], v[104:105], v[102:103]
	v_fma_f64 v[72:73], v[27:28], s[26:27], v[25:26]
	v_add_f64 v[56:57], v[56:57], v[1:2]
	v_add_f64 v[27:28], v[21:22], v[78:79]
	;; [unrolled: 1-line block ×7, first 2 shown]
	v_mul_u32_u24_e32 v54, 0x750, v95
	v_lshlrev_b32_e32 v55, 4, v94
	v_add3_u32 v54, 0, v54, v55
	v_add_f64 v[1:2], v[64:65], v[102:103]
	v_add_f64 v[49:50], v[72:73], v[56:57]
	ds_write_b128 v54, v[5:8]
	ds_write_b128 v54, v[25:28] offset:144
	ds_write_b128 v54, v[21:24] offset:288
	;; [unrolled: 1-line block ×12, first 2 shown]
.LBB0_12:
	s_or_b64 exec, exec, s[6:7]
	s_waitcnt vmcnt(12)
	v_mul_lo_u16_e32 v1, 20, v95
	s_waitcnt vmcnt(6)
	v_lshrrev_b16_e32 v9, 8, v1
	v_mul_lo_u16_e32 v1, 13, v9
	v_sub_u16_e32 v1, v95, v1
	v_and_b32_e32 v10, 0xff, v1
	v_mul_u32_u24_e32 v1, 7, v10
	v_lshlrev_b32_e32 v11, 4, v1
	s_waitcnt vmcnt(0) lgkmcnt(0)
	s_barrier
	global_load_dwordx4 v[1:4], v11, s[16:17]
	global_load_dwordx4 v[5:8], v11, s[16:17] offset:16
	global_load_dwordx4 v[12:15], v11, s[16:17] offset:32
	;; [unrolled: 1-line block ×6, first 2 shown]
	v_mul_u32_u24_e32 v11, 0x90, v95
	v_lshlrev_b32_e32 v52, 4, v94
	v_add3_u32 v11, 0, v11, v52
	ds_read_b128 v[32:35], v11
	ds_read_b128 v[36:39], v11 offset:3744
	ds_read_b128 v[40:43], v11 offset:7488
	;; [unrolled: 1-line block ×7, first 2 shown]
	s_movk_i32 s18, 0x68
	v_mad_u32_u24 v9, v9, s18, v10
	v_mul_u32_u24_e32 v9, 0x90, v9
	v_add3_u32 v52, 0, v9, v52
	s_mov_b32 s2, 0x667f3bcd
	s_mov_b32 s3, 0xbfe6a09e
	s_mov_b32 s7, 0x3fe6a09e
	s_mov_b32 s6, s2
	s_or_b64 s[0:1], vcc, s[0:1]
	s_waitcnt vmcnt(0) lgkmcnt(0)
	s_barrier
	v_mul_f64 v[9:10], v[38:39], v[3:4]
	v_mul_f64 v[3:4], v[36:37], v[3:4]
	;; [unrolled: 1-line block ×14, first 2 shown]
	v_fma_f64 v[9:10], v[36:37], v[1:2], v[9:10]
	v_fma_f64 v[1:2], v[38:39], v[1:2], -v[3:4]
	v_fma_f64 v[3:4], v[40:41], v[5:6], v[66:67]
	v_fma_f64 v[5:6], v[42:43], v[5:6], -v[7:8]
	;; [unrolled: 2-line block ×7, first 2 shown]
	v_add_f64 v[14:15], v[32:33], -v[14:15]
	v_add_f64 v[16:17], v[34:35], -v[16:17]
	;; [unrolled: 1-line block ×8, first 2 shown]
	v_fma_f64 v[30:31], v[32:33], 2.0, -v[14:15]
	v_fma_f64 v[32:33], v[34:35], 2.0, -v[16:17]
	;; [unrolled: 1-line block ×8, first 2 shown]
	v_add_f64 v[24:25], v[14:15], v[24:25]
	v_add_f64 v[34:35], v[16:17], -v[18:19]
	v_add_f64 v[18:19], v[26:27], v[28:29]
	v_add_f64 v[22:23], v[20:21], -v[22:23]
	v_add_f64 v[28:29], v[30:31], -v[3:4]
	;; [unrolled: 1-line block ×5, first 2 shown]
	v_fma_f64 v[38:39], v[14:15], 2.0, -v[24:25]
	v_fma_f64 v[40:41], v[16:17], 2.0, -v[34:35]
	;; [unrolled: 1-line block ×4, first 2 shown]
	v_fma_f64 v[7:8], v[18:19], s[6:7], v[24:25]
	v_fma_f64 v[12:13], v[22:23], s[6:7], v[34:35]
	v_fma_f64 v[30:31], v[30:31], 2.0, -v[28:29]
	v_fma_f64 v[32:33], v[32:33], 2.0, -v[36:37]
	;; [unrolled: 1-line block ×4, first 2 shown]
	v_fma_f64 v[20:21], v[26:27], s[2:3], v[38:39]
	v_fma_f64 v[42:43], v[16:17], s[2:3], v[40:41]
	v_add_f64 v[1:2], v[28:29], v[5:6]
	v_add_f64 v[3:4], v[36:37], -v[3:4]
	v_fma_f64 v[5:6], v[22:23], s[6:7], v[7:8]
	v_fma_f64 v[7:8], v[18:19], s[2:3], v[12:13]
	v_add_f64 v[12:13], v[30:31], -v[9:10]
	v_add_f64 v[14:15], v[32:33], -v[14:15]
	v_fma_f64 v[16:17], v[16:17], s[6:7], v[20:21]
	v_fma_f64 v[18:19], v[26:27], s[2:3], v[42:43]
	v_fma_f64 v[20:21], v[28:29], 2.0, -v[1:2]
	v_fma_f64 v[22:23], v[36:37], 2.0, -v[3:4]
	;; [unrolled: 1-line block ×8, first 2 shown]
	ds_write_b128 v52, v[1:4] offset:11232
	ds_write_b128 v52, v[5:8] offset:13104
	;; [unrolled: 1-line block ×6, first 2 shown]
	ds_write_b128 v52, v[28:31]
	ds_write_b128 v52, v[32:35] offset:1872
	s_waitcnt lgkmcnt(0)
	s_barrier
	s_and_saveexec_b64 s[2:3], s[0:1]
	s_cbranch_execz .LBB0_14
; %bb.13:
	s_movk_i32 s2, 0xea
	v_add_u32_e32 v9, 0x4e, v95
	v_subrev_u32_e32 v1, 26, v95
	v_cmp_gt_u32_e32 vcc, s2, v0
	v_cndmask_b32_e32 v5, v1, v9, vcc
	v_mov_b32_e32 v6, 0
	v_add_u32_e32 v3, 0x68, v5
	v_lshlrev_b64 v[1:2], 4, v[5:6]
	v_mul_lo_u32 v7, v53, v3
	s_load_dwordx2 s[0:1], s[4:5], 0x8
	v_mov_b32_e32 v13, s17
	v_add_co_u32_e32 v1, vcc, s16, v1
	v_addc_co_u32_e32 v2, vcc, v13, v2, vcc
	global_load_dwordx4 v[16:19], v[1:2], off offset:1456
	v_bfe_u32 v1, v7, 16, 8
	v_mov_b32_e32 v12, 0x2000
	v_mov_b32_e32 v14, 4
	v_lshl_or_b32 v8, v1, 4, v12
	v_lshlrev_b32_sdwa v15, v14, v7 dst_sel:DWORD dst_unused:UNUSED_PAD src0_sel:DWORD src1_sel:BYTE_0
	s_waitcnt lgkmcnt(0)
	global_load_dwordx4 v[1:4], v8, s[0:1]
	global_load_dwordx4 v[20:23], v15, s[0:1]
	v_bfe_u32 v7, v7, 8, 8
	v_mov_b32_e32 v15, 0x1000
	v_lshl_or_b32 v7, v7, 4, v15
	global_load_dwordx4 v[24:27], v7, s[0:1]
	v_mul_lo_u32 v52, v53, v5
	s_movk_i32 s2, 0x1d4
	v_add_u32_e32 v10, 52, v95
	v_cmp_gt_u32_e32 vcc, s2, v0
	v_lshlrev_b32_sdwa v7, v14, v52 dst_sel:DWORD dst_unused:UNUSED_PAD src0_sel:DWORD src1_sel:BYTE_0
	v_bfe_u32 v8, v52, 8, 8
	v_lshl_or_b32 v8, v8, 4, v15
	global_load_dwordx4 v[28:31], v7, s[0:1]
	global_load_dwordx4 v[32:35], v8, s[0:1]
	v_subrev_u32_e32 v7, 52, v95
	v_cndmask_b32_e32 v7, v7, v10, vcc
	v_mov_b32_e32 v8, v6
	v_lshlrev_b64 v[36:37], 4, v[7:8]
	v_add_u32_e32 v8, 0x68, v7
	v_mul_lo_u32 v88, v53, v8
	v_mul_lo_u32 v89, v53, v7
	v_add_co_u32_e32 v36, vcc, s16, v36
	v_lshlrev_b32_sdwa v8, v14, v88 dst_sel:DWORD dst_unused:UNUSED_PAD src0_sel:DWORD src1_sel:BYTE_0
	v_addc_co_u32_e32 v37, vcc, v13, v37, vcc
	global_load_dwordx4 v[40:43], v8, s[0:1]
	v_bfe_u32 v8, v88, 8, 8
	global_load_dwordx4 v[36:39], v[36:37], off offset:1456
	v_lshl_or_b32 v8, v8, 4, v15
	global_load_dwordx4 v[44:47], v8, s[0:1]
	v_lshlrev_b32_sdwa v8, v14, v89 dst_sel:DWORD dst_unused:UNUSED_PAD src0_sel:DWORD src1_sel:BYTE_0
	v_bfe_u32 v48, v89, 8, 8
	v_lshl_or_b32 v58, v48, 4, v15
	global_load_dwordx4 v[48:51], v8, s[0:1]
	global_load_dwordx4 v[54:57], v58, s[0:1]
	s_movk_i32 s2, 0x2be
	v_add_u32_e32 v8, 26, v95
	v_add_u32_e32 v78, 0xffffffb2, v95
	v_cmp_gt_u32_e32 vcc, s2, v0
	v_cndmask_b32_e32 v104, v78, v8, vcc
	v_mov_b32_e32 v105, v6
	v_lshlrev_b64 v[78:79], 4, v[104:105]
	v_bfe_u32 v52, v52, 16, 8
	v_add_u32_e32 v74, 0xea0, v11
	v_add_u32_e32 v66, 0x2be0, v11
	;; [unrolled: 1-line block ×3, first 2 shown]
	v_add_co_u32_e32 v86, vcc, s16, v78
	v_lshl_or_b32 v52, v52, 4, v12
	ds_read_b128 v[58:61], v11 offset:22464
	ds_read_b128 v[62:65], v11 offset:18720
	ds_read_b128 v[66:69], v66
	ds_read_b128 v[70:73], v11 offset:26208
	ds_read_b128 v[74:77], v74
	v_mul_lo_u32 v90, v53, v80
	v_addc_co_u32_e32 v87, vcc, v13, v79, vcc
	global_load_dwordx4 v[78:81], v52, s[0:1]
	global_load_dwordx4 v[82:85], v[86:87], off offset:1456
	v_bfe_u32 v86, v88, 16, 8
	v_bfe_u32 v87, v90, 16, 8
	;; [unrolled: 1-line block ×4, first 2 shown]
	v_lshlrev_b32_sdwa v107, v14, v90 dst_sel:DWORD dst_unused:UNUSED_PAD src0_sel:DWORD src1_sel:BYTE_0
	v_lshl_or_b32 v98, v86, 4, v12
	v_lshl_or_b32 v108, v87, 4, v12
	;; [unrolled: 1-line block ×4, first 2 shown]
	global_load_dwordx4 v[86:89], v98, s[0:1]
	global_load_dwordx4 v[90:93], v52, s[0:1]
	s_movk_i32 s2, 0x3a8
	v_cmp_gt_u32_e32 vcc, s2, v0
	v_mov_b32_e32 v124, v6
	v_add_u32_e32 v125, 0x1d40, v11
	s_waitcnt vmcnt(11)
	v_mul_f64 v[96:97], v[20:21], v[26:27]
	v_mul_f64 v[26:27], v[22:23], v[26:27]
	v_fma_f64 v[105:106], v[22:23], v[24:25], v[96:97]
	global_load_dwordx4 v[96:99], v108, s[0:1]
	global_load_dwordx4 v[100:103], v107, s[0:1]
	s_waitcnt lgkmcnt(1)
	v_mul_f64 v[22:23], v[70:71], v[18:19]
	v_mul_f64 v[107:108], v[72:73], v[18:19]
	v_fma_f64 v[24:25], v[20:21], v[24:25], -v[26:27]
	global_load_dwordx4 v[18:21], v113, s[0:1]
	s_waitcnt vmcnt(12)
	v_mul_f64 v[111:112], v[30:31], v[34:35]
	v_mul_f64 v[34:35], v[28:29], v[34:35]
	;; [unrolled: 1-line block ×3, first 2 shown]
	v_fma_f64 v[72:73], v[72:73], v[16:17], -v[22:23]
	v_fma_f64 v[70:71], v[70:71], v[16:17], v[107:108]
	v_mul_f64 v[3:4], v[24:25], v[3:4]
	v_fma_f64 v[107:108], v[28:29], v[32:33], -v[111:112]
	s_waitcnt vmcnt(10)
	v_mul_f64 v[16:17], v[60:61], v[38:39]
	v_fma_f64 v[111:112], v[1:2], v[24:25], -v[26:27]
	v_mul_lo_u32 v26, v53, v104
	v_mul_f64 v[109:110], v[58:59], v[38:39]
	v_add_f64 v[70:71], v[66:67], -v[70:71]
	v_add_f64 v[72:73], v[68:69], -v[72:73]
	s_waitcnt vmcnt(7)
	v_mul_f64 v[22:23], v[50:51], v[56:57]
	v_mul_f64 v[24:25], v[48:49], v[56:57]
	v_fma_f64 v[117:118], v[58:59], v[36:37], v[16:17]
	v_bfe_u32 v16, v26, 16, 8
	v_lshl_or_b32 v16, v16, 4, v12
	v_bfe_u32 v17, v26, 8, 8
	v_fma_f64 v[56:57], v[30:31], v[32:33], v[34:35]
	v_fma_f64 v[109:110], v[60:61], v[36:37], -v[109:110]
	v_fma_f64 v[119:120], v[48:49], v[54:55], -v[22:23]
	v_fma_f64 v[121:122], v[50:51], v[54:55], v[24:25]
	global_load_dwordx4 v[22:25], v16, s[0:1]
	v_mul_f64 v[113:114], v[42:43], v[46:47]
	v_mul_f64 v[46:47], v[40:41], v[46:47]
	v_lshlrev_b32_sdwa v16, v14, v26 dst_sel:DWORD dst_unused:UNUSED_PAD src0_sel:DWORD src1_sel:BYTE_0
	v_add_u32_e32 v26, 0xffffff98, v95
	v_cndmask_b32_e32 v123, v26, v95, vcc
	v_add_u32_e32 v26, 0x68, v123
	v_lshl_or_b32 v17, v17, 4, v15
	v_fma_f64 v[58:59], v[1:2], v[105:106], v[3:4]
	v_fma_f64 v[113:114], v[40:41], v[44:45], -v[113:114]
	v_fma_f64 v[115:116], v[42:43], v[44:45], v[46:47]
	v_mul_lo_u32 v42, v53, v26
	global_load_dwordx4 v[26:29], v16, s[0:1]
	global_load_dwordx4 v[30:33], v17, s[0:1]
	s_waitcnt vmcnt(9)
	v_mul_f64 v[60:61], v[107:108], v[80:81]
	v_fma_f64 v[105:106], v[66:67], 2.0, -v[70:71]
	v_bfe_u32 v6, v42, 16, 8
	v_lshl_or_b32 v6, v6, 4, v12
	v_lshlrev_b32_sdwa v16, v14, v42 dst_sel:DWORD dst_unused:UNUSED_PAD src0_sel:DWORD src1_sel:BYTE_0
	global_load_dwordx4 v[34:37], v6, s[0:1]
	global_load_dwordx4 v[38:41], v16, s[0:1]
	v_bfe_u32 v6, v42, 8, 8
	v_lshl_or_b32 v6, v6, 4, v15
	global_load_dwordx4 v[42:45], v6, s[0:1]
	v_lshlrev_b64 v[16:17], 4, v[123:124]
	v_mul_lo_u32 v6, v53, v123
	v_add_co_u32_e32 v16, vcc, s16, v16
	v_addc_co_u32_e32 v17, vcc, v13, v17, vcc
	global_load_dwordx4 v[46:49], v[16:17], off offset:1456
	v_lshlrev_b32_sdwa v17, v14, v6 dst_sel:DWORD dst_unused:UNUSED_PAD src0_sel:DWORD src1_sel:BYTE_0
	v_bfe_u32 v13, v6, 8, 8
	v_lshl_or_b32 v54, v13, 4, v15
	global_load_dwordx4 v[13:16], v17, s[0:1]
	global_load_dwordx4 v[50:53], v54, s[0:1]
	v_mul_f64 v[54:55], v[56:57], v[80:81]
	v_bfe_u32 v6, v6, 16, 8
	v_lshl_or_b32 v6, v6, 4, v12
	v_fma_f64 v[68:69], v[68:69], 2.0, -v[72:73]
	ds_read_b128 v[1:4], v125
	v_fma_f64 v[80:81], v[78:79], v[107:108], -v[54:55]
	v_fma_f64 v[78:79], v[78:79], v[56:57], v[60:61]
	global_load_dwordx4 v[54:57], v6, s[0:1]
	v_mul_f64 v[60:61], v[70:71], v[58:59]
	v_mul_f64 v[58:59], v[72:73], v[58:59]
	s_waitcnt vmcnt(14)
	v_mul_f64 v[107:108], v[115:116], v[88:89]
	v_mov_b32_e32 v6, 0xd0
	v_mul_f64 v[66:67], v[105:106], v[78:79]
	v_fma_f64 v[60:61], v[72:73], v[111:112], -v[60:61]
	v_fma_f64 v[58:59], v[70:71], v[111:112], v[58:59]
	s_waitcnt vmcnt(10)
	v_mul_f64 v[70:71], v[102:103], v[20:21]
	v_mul_f64 v[72:73], v[113:114], v[88:89]
	;; [unrolled: 1-line block ×4, first 2 shown]
	v_fma_f64 v[66:67], v[68:69], v[80:81], -v[66:67]
	v_mul_f64 v[68:69], v[68:69], v[78:79]
	v_fma_f64 v[78:79], v[86:87], v[113:114], -v[107:108]
	s_waitcnt lgkmcnt(0)
	v_add_f64 v[107:108], v[1:2], -v[117:118]
	v_fma_f64 v[70:71], v[100:101], v[18:19], -v[70:71]
	v_add_f64 v[100:101], v[3:4], -v[109:110]
	v_fma_f64 v[72:73], v[86:87], v[115:116], v[72:73]
	v_mul_f64 v[86:87], v[119:120], v[92:93]
	v_mul_f64 v[84:85], v[62:63], v[84:85]
	v_fma_f64 v[17:18], v[102:103], v[18:19], v[20:21]
	v_fma_f64 v[19:20], v[62:63], v[82:83], v[88:89]
	v_mul_f64 v[62:63], v[70:71], v[98:99]
	v_fma_f64 v[88:89], v[3:4], 2.0, -v[100:101]
	v_mul_f64 v[3:4], v[121:122], v[92:93]
	v_fma_f64 v[92:93], v[1:2], 2.0, -v[107:108]
	v_fma_f64 v[1:2], v[90:91], v[121:122], v[86:87]
	v_fma_f64 v[64:65], v[64:65], v[82:83], -v[84:85]
	v_mul_f64 v[82:83], v[17:18], v[98:99]
	v_add_f64 v[84:85], v[74:75], -v[19:20]
	v_fma_f64 v[62:63], v[96:97], v[17:18], v[62:63]
	v_mul_f64 v[17:18], v[107:108], v[72:73]
	v_mul_f64 v[19:20], v[100:101], v[72:73]
	v_fma_f64 v[72:73], v[90:91], v[119:120], -v[3:4]
	v_mul_f64 v[86:87], v[92:93], v[1:2]
	v_mul_f64 v[90:91], v[88:89], v[1:2]
	v_add_f64 v[98:99], v[76:77], -v[64:65]
	v_fma_f64 v[82:83], v[96:97], v[70:71], -v[82:83]
	v_mul_f64 v[70:71], v[84:85], v[62:63]
	v_fma_f64 v[3:4], v[100:101], v[78:79], -v[17:18]
	v_fma_f64 v[1:2], v[107:108], v[78:79], v[19:20]
	v_fma_f64 v[64:65], v[105:106], v[80:81], v[68:69]
	v_fma_f64 v[19:20], v[88:89], v[72:73], -v[86:87]
	v_fma_f64 v[17:18], v[92:93], v[72:73], v[90:91]
	s_waitcnt vmcnt(7)
	v_mul_f64 v[95:96], v[26:27], v[32:33]
	v_mul_f64 v[86:87], v[28:29], v[32:33]
	v_fma_f64 v[32:33], v[98:99], v[82:83], -v[70:71]
	ds_read_b128 v[68:71], v11
	ds_read_b128 v[78:81], v11 offset:14976
	v_fma_f64 v[11:12], v[28:29], v[30:31], v[95:96]
	s_waitcnt vmcnt(4)
	v_mul_f64 v[72:73], v[40:41], v[44:45]
	v_fma_f64 v[26:27], v[26:27], v[30:31], -v[86:87]
	v_mul_f64 v[30:31], v[38:39], v[44:45]
	v_mul_f64 v[28:29], v[98:99], v[62:63]
	v_fma_f64 v[62:63], v[76:77], 2.0, -v[98:99]
	s_waitcnt vmcnt(3) lgkmcnt(0)
	v_mul_f64 v[44:45], v[80:81], v[48:49]
	v_fma_f64 v[38:39], v[38:39], v[42:43], -v[72:73]
	v_mul_f64 v[48:49], v[78:79], v[48:49]
	v_mul_f64 v[72:73], v[11:12], v[24:25]
	s_waitcnt vmcnt(1)
	v_mul_f64 v[76:77], v[15:16], v[52:53]
	v_mul_f64 v[24:25], v[26:27], v[24:25]
	v_fma_f64 v[30:31], v[40:41], v[42:43], v[30:31]
	v_fma_f64 v[40:41], v[78:79], v[46:47], v[44:45]
	v_mul_f64 v[42:43], v[38:39], v[36:37]
	v_fma_f64 v[44:45], v[80:81], v[46:47], -v[48:49]
	v_mul_f64 v[46:47], v[13:14], v[52:53]
	v_fma_f64 v[52:53], v[13:14], v[50:51], -v[76:77]
	v_fma_f64 v[48:49], v[74:75], 2.0, -v[84:85]
	v_fma_f64 v[11:12], v[22:23], v[11:12], v[24:25]
	v_mul_f64 v[13:14], v[30:31], v[36:37]
	v_add_f64 v[36:37], v[68:69], -v[40:41]
	v_fma_f64 v[24:25], v[34:35], v[30:31], v[42:43]
	v_add_f64 v[40:41], v[70:71], -v[44:45]
	v_fma_f64 v[15:16], v[15:16], v[50:51], v[46:47]
	v_fma_f64 v[21:22], v[22:23], v[26:27], -v[72:73]
	s_waitcnt vmcnt(0)
	v_mul_f64 v[26:27], v[52:53], v[56:57]
	v_mul_f64 v[42:43], v[48:49], v[11:12]
	;; [unrolled: 1-line block ×3, first 2 shown]
	v_fma_f64 v[34:35], v[34:35], v[38:39], -v[13:14]
	v_mul_f64 v[38:39], v[36:37], v[24:25]
	v_mul_f64 v[44:45], v[40:41], v[24:25]
	;; [unrolled: 1-line block ×3, first 2 shown]
	v_fma_f64 v[50:51], v[68:69], 2.0, -v[36:37]
	v_fma_f64 v[15:16], v[54:55], v[15:16], v[26:27]
	v_fma_f64 v[25:26], v[70:71], 2.0, -v[40:41]
	v_fma_f64 v[13:14], v[62:63], v[21:22], -v[42:43]
	v_fma_f64 v[11:12], v[48:49], v[21:22], v[11:12]
	v_fma_f64 v[30:31], v[84:85], v[82:83], v[28:29]
	;; [unrolled: 1-line block ×3, first 2 shown]
	v_mad_u64_u32 v[36:37], s[0:1], s10, v94, 0
	s_movk_i32 s0, 0x3a7
	v_cmp_lt_u32_e32 vcc, s0, v0
	v_cndmask_b32_e32 v0, 0, v6, vcc
	v_add_u32_e32 v6, v123, v0
	v_fma_f64 v[23:24], v[40:41], v[34:35], -v[38:39]
	v_fma_f64 v[34:35], v[54:55], v[52:53], -v[46:47]
	v_mul_f64 v[27:28], v[50:51], v[15:16]
	v_mul_f64 v[15:16], v[25:26], v[15:16]
	v_mad_u64_u32 v[38:39], s[0:1], s8, v6, 0
	v_mov_b32_e32 v0, v37
	v_mad_u64_u32 v[40:41], s[0:1], s11, v94, v[0:1]
	v_mov_b32_e32 v0, v39
	v_mad_u64_u32 v[41:42], s[0:1], s9, v6, v[0:1]
	s_lshl_b64 s[0:1], s[14:15], 4
	s_add_u32 s2, s12, s0
	v_fma_f64 v[27:28], v[25:26], v[34:35], -v[27:28]
	v_fma_f64 v[25:26], v[50:51], v[34:35], v[15:16]
	v_mov_b32_e32 v37, v40
	s_addc_u32 s0, s13, s1
	v_add_u32_e32 v6, 0x68, v6
	v_lshlrev_b64 v[15:16], 4, v[36:37]
	v_mov_b32_e32 v0, s0
	v_mad_u64_u32 v[34:35], s[0:1], s8, v6, 0
	v_mov_b32_e32 v39, v41
	v_add_co_u32_e32 v29, vcc, s2, v15
	v_addc_co_u32_e32 v37, vcc, v0, v16, vcc
	v_lshlrev_b64 v[15:16], 4, v[38:39]
	v_mov_b32_e32 v0, v35
	v_mad_u64_u32 v[35:36], s[0:1], s9, v6, v[0:1]
	v_add_co_u32_e32 v15, vcc, v29, v15
	v_sub_u32_e32 v0, v8, v104
	v_addc_co_u32_e32 v16, vcc, v37, v16, vcc
	v_add_u32_e32 v6, v0, v8
	global_store_dwordx4 v[15:16], v[25:28], off
	v_lshlrev_b64 v[15:16], 4, v[34:35]
	v_mad_u64_u32 v[25:26], s[0:1], s8, v6, 0
	v_add_co_u32_e32 v15, vcc, v29, v15
	v_mov_b32_e32 v0, v26
	v_mad_u64_u32 v[26:27], s[0:1], s9, v6, v[0:1]
	v_add_u32_e32 v6, 0x68, v6
	v_mad_u64_u32 v[27:28], s[0:1], s8, v6, 0
	v_addc_co_u32_e32 v16, vcc, v37, v16, vcc
	global_store_dwordx4 v[15:16], v[21:24], off
	v_lshlrev_b64 v[15:16], 4, v[25:26]
	v_mov_b32_e32 v0, v28
	v_add_co_u32_e32 v15, vcc, v29, v15
	v_mad_u64_u32 v[21:22], s[0:1], s9, v6, v[0:1]
	v_addc_co_u32_e32 v16, vcc, v37, v16, vcc
	v_sub_u32_e32 v0, v10, v7
	global_store_dwordx4 v[15:16], v[11:14], off
	v_mov_b32_e32 v28, v21
	v_add_u32_e32 v13, v0, v10
	v_mad_u64_u32 v[6:7], s[0:1], s8, v13, 0
	v_lshlrev_b64 v[11:12], 4, v[27:28]
	v_mov_b32_e32 v0, v7
	v_mad_u64_u32 v[7:8], s[0:1], s9, v13, v[0:1]
	v_add_co_u32_e32 v10, vcc, v29, v11
	v_add_u32_e32 v8, 0x68, v13
	v_addc_co_u32_e32 v11, vcc, v37, v12, vcc
	v_mad_u64_u32 v[12:13], s[0:1], s8, v8, 0
	global_store_dwordx4 v[10:11], v[30:33], off
	v_lshlrev_b64 v[6:7], 4, v[6:7]
	v_mov_b32_e32 v0, v13
	v_mad_u64_u32 v[10:11], s[0:1], s9, v8, v[0:1]
	v_sub_u32_e32 v0, v9, v5
	v_add_u32_e32 v11, v0, v9
	v_add_co_u32_e32 v6, vcc, v29, v6
	v_mad_u64_u32 v[8:9], s[0:1], s8, v11, 0
	v_addc_co_u32_e32 v7, vcc, v37, v7, vcc
	v_mov_b32_e32 v13, v10
	global_store_dwordx4 v[6:7], v[17:20], off
	v_lshlrev_b64 v[6:7], 4, v[12:13]
	v_mov_b32_e32 v0, v9
	v_add_co_u32_e32 v5, vcc, v29, v6
	v_addc_co_u32_e32 v6, vcc, v37, v7, vcc
	v_mad_u64_u32 v[9:10], s[0:1], s9, v11, v[0:1]
	v_add_u32_e32 v7, 0x68, v11
	v_mad_u64_u32 v[10:11], s[0:1], s8, v7, 0
	global_store_dwordx4 v[5:6], v[1:4], off
	s_nop 0
	v_mov_b32_e32 v2, v11
	v_mad_u64_u32 v[2:3], s[0:1], s9, v7, v[2:3]
	v_lshlrev_b64 v[0:1], 4, v[8:9]
	v_add_co_u32_e32 v0, vcc, v29, v0
	v_addc_co_u32_e32 v1, vcc, v37, v1, vcc
	v_mov_b32_e32 v11, v2
	global_store_dwordx4 v[0:1], v[64:67], off
	v_lshlrev_b64 v[0:1], 4, v[10:11]
	v_add_co_u32_e32 v0, vcc, v29, v0
	v_addc_co_u32_e32 v1, vcc, v37, v1, vcc
	global_store_dwordx4 v[0:1], v[58:61], off
.LBB0_14:
	s_endpgm
	.section	.rodata,"a",@progbits
	.p2align	6, 0x0
	.amdhsa_kernel fft_rtc_back_len208_factors_13_8_2_wgs_234_tpt_26_dim3_dp_ip_CI_sbcc_twdbase8_3step_dirReg
		.amdhsa_group_segment_fixed_size 0
		.amdhsa_private_segment_fixed_size 0
		.amdhsa_kernarg_size 88
		.amdhsa_user_sgpr_count 6
		.amdhsa_user_sgpr_private_segment_buffer 1
		.amdhsa_user_sgpr_dispatch_ptr 0
		.amdhsa_user_sgpr_queue_ptr 0
		.amdhsa_user_sgpr_kernarg_segment_ptr 1
		.amdhsa_user_sgpr_dispatch_id 0
		.amdhsa_user_sgpr_flat_scratch_init 0
		.amdhsa_user_sgpr_private_segment_size 0
		.amdhsa_uses_dynamic_stack 0
		.amdhsa_system_sgpr_private_segment_wavefront_offset 0
		.amdhsa_system_sgpr_workgroup_id_x 1
		.amdhsa_system_sgpr_workgroup_id_y 0
		.amdhsa_system_sgpr_workgroup_id_z 0
		.amdhsa_system_sgpr_workgroup_info 0
		.amdhsa_system_vgpr_workitem_id 0
		.amdhsa_next_free_vgpr 126
		.amdhsa_next_free_sgpr 54
		.amdhsa_reserve_vcc 1
		.amdhsa_reserve_flat_scratch 0
		.amdhsa_float_round_mode_32 0
		.amdhsa_float_round_mode_16_64 0
		.amdhsa_float_denorm_mode_32 3
		.amdhsa_float_denorm_mode_16_64 3
		.amdhsa_dx10_clamp 1
		.amdhsa_ieee_mode 1
		.amdhsa_fp16_overflow 0
		.amdhsa_exception_fp_ieee_invalid_op 0
		.amdhsa_exception_fp_denorm_src 0
		.amdhsa_exception_fp_ieee_div_zero 0
		.amdhsa_exception_fp_ieee_overflow 0
		.amdhsa_exception_fp_ieee_underflow 0
		.amdhsa_exception_fp_ieee_inexact 0
		.amdhsa_exception_int_div_zero 0
	.end_amdhsa_kernel
	.text
.Lfunc_end0:
	.size	fft_rtc_back_len208_factors_13_8_2_wgs_234_tpt_26_dim3_dp_ip_CI_sbcc_twdbase8_3step_dirReg, .Lfunc_end0-fft_rtc_back_len208_factors_13_8_2_wgs_234_tpt_26_dim3_dp_ip_CI_sbcc_twdbase8_3step_dirReg
                                        ; -- End function
	.section	.AMDGPU.csdata,"",@progbits
; Kernel info:
; codeLenInByte = 9832
; NumSgprs: 58
; NumVgprs: 126
; ScratchSize: 0
; MemoryBound: 1
; FloatMode: 240
; IeeeMode: 1
; LDSByteSize: 0 bytes/workgroup (compile time only)
; SGPRBlocks: 7
; VGPRBlocks: 31
; NumSGPRsForWavesPerEU: 58
; NumVGPRsForWavesPerEU: 126
; Occupancy: 2
; WaveLimiterHint : 1
; COMPUTE_PGM_RSRC2:SCRATCH_EN: 0
; COMPUTE_PGM_RSRC2:USER_SGPR: 6
; COMPUTE_PGM_RSRC2:TRAP_HANDLER: 0
; COMPUTE_PGM_RSRC2:TGID_X_EN: 1
; COMPUTE_PGM_RSRC2:TGID_Y_EN: 0
; COMPUTE_PGM_RSRC2:TGID_Z_EN: 0
; COMPUTE_PGM_RSRC2:TIDIG_COMP_CNT: 0
	.type	__hip_cuid_ae97e0b27b66e97c,@object ; @__hip_cuid_ae97e0b27b66e97c
	.section	.bss,"aw",@nobits
	.globl	__hip_cuid_ae97e0b27b66e97c
__hip_cuid_ae97e0b27b66e97c:
	.byte	0                               ; 0x0
	.size	__hip_cuid_ae97e0b27b66e97c, 1

	.ident	"AMD clang version 19.0.0git (https://github.com/RadeonOpenCompute/llvm-project roc-6.4.0 25133 c7fe45cf4b819c5991fe208aaa96edf142730f1d)"
	.section	".note.GNU-stack","",@progbits
	.addrsig
	.addrsig_sym __hip_cuid_ae97e0b27b66e97c
	.amdgpu_metadata
---
amdhsa.kernels:
  - .args:
      - .actual_access:  read_only
        .address_space:  global
        .offset:         0
        .size:           8
        .value_kind:     global_buffer
      - .address_space:  global
        .offset:         8
        .size:           8
        .value_kind:     global_buffer
      - .actual_access:  read_only
        .address_space:  global
        .offset:         16
        .size:           8
        .value_kind:     global_buffer
      - .actual_access:  read_only
        .address_space:  global
        .offset:         24
        .size:           8
        .value_kind:     global_buffer
      - .offset:         32
        .size:           8
        .value_kind:     by_value
      - .actual_access:  read_only
        .address_space:  global
        .offset:         40
        .size:           8
        .value_kind:     global_buffer
      - .actual_access:  read_only
        .address_space:  global
        .offset:         48
        .size:           8
        .value_kind:     global_buffer
      - .offset:         56
        .size:           4
        .value_kind:     by_value
      - .actual_access:  read_only
        .address_space:  global
        .offset:         64
        .size:           8
        .value_kind:     global_buffer
      - .actual_access:  read_only
        .address_space:  global
        .offset:         72
        .size:           8
        .value_kind:     global_buffer
      - .address_space:  global
        .offset:         80
        .size:           8
        .value_kind:     global_buffer
    .group_segment_fixed_size: 0
    .kernarg_segment_align: 8
    .kernarg_segment_size: 88
    .language:       OpenCL C
    .language_version:
      - 2
      - 0
    .max_flat_workgroup_size: 234
    .name:           fft_rtc_back_len208_factors_13_8_2_wgs_234_tpt_26_dim3_dp_ip_CI_sbcc_twdbase8_3step_dirReg
    .private_segment_fixed_size: 0
    .sgpr_count:     58
    .sgpr_spill_count: 0
    .symbol:         fft_rtc_back_len208_factors_13_8_2_wgs_234_tpt_26_dim3_dp_ip_CI_sbcc_twdbase8_3step_dirReg.kd
    .uniform_work_group_size: 1
    .uses_dynamic_stack: false
    .vgpr_count:     126
    .vgpr_spill_count: 0
    .wavefront_size: 64
amdhsa.target:   amdgcn-amd-amdhsa--gfx906
amdhsa.version:
  - 1
  - 2
...

	.end_amdgpu_metadata
